;; amdgpu-corpus repo=ROCm/rocFFT kind=compiled arch=gfx1030 opt=O3
	.text
	.amdgcn_target "amdgcn-amd-amdhsa--gfx1030"
	.amdhsa_code_object_version 6
	.protected	bluestein_single_fwd_len1458_dim1_sp_op_CI_CI ; -- Begin function bluestein_single_fwd_len1458_dim1_sp_op_CI_CI
	.globl	bluestein_single_fwd_len1458_dim1_sp_op_CI_CI
	.p2align	8
	.type	bluestein_single_fwd_len1458_dim1_sp_op_CI_CI,@function
bluestein_single_fwd_len1458_dim1_sp_op_CI_CI: ; @bluestein_single_fwd_len1458_dim1_sp_op_CI_CI
; %bb.0:
	s_load_dwordx4 s[12:15], s[4:5], 0x28
	v_mul_u32_u24_e32 v1, 0x10e, v0
	v_mov_b32_e32 v45, 0
	s_mov_b32 s0, exec_lo
	v_lshrrev_b32_e32 v1, 16, v1
	v_add_nc_u32_e32 v44, s6, v1
	s_waitcnt lgkmcnt(0)
	v_cmpx_gt_u64_e64 s[12:13], v[44:45]
	s_cbranch_execz .LBB0_2
; %bb.1:
	s_clause 0x1
	s_load_dwordx4 s[0:3], s[4:5], 0x18
	s_load_dwordx4 s[8:11], s[4:5], 0x0
	v_mul_lo_u16 v1, 0xf3, v1
	v_mov_b32_e32 v34, 3
	v_sub_nc_u16 v32, v0, v1
	v_and_b32_e32 v53, 0xffff, v32
	v_and_b32_e32 v22, 0xff, v32
	v_lshlrev_b32_e32 v54, 3, v53
	v_add_co_u32 v33, null, 0xf3, v53
	s_waitcnt lgkmcnt(0)
	s_load_dwordx4 s[16:19], s[0:1], 0x0
	s_clause 0x1
	global_load_dwordx2 v[42:43], v54, s[8:9]
	global_load_dwordx2 v[40:41], v54, s[8:9] offset:1944
	v_add_co_u32 v57, s0, s8, v54
	v_add_co_ci_u32_e64 v58, null, s9, 0, s0
	v_add_nc_u32_e32 v56, 0xf00, v54
	v_add_co_u32 v4, vcc_lo, 0x800, v57
	v_add_co_ci_u32_e32 v5, vcc_lo, 0, v58, vcc_lo
	v_add_nc_u32_e32 v55, 0x1e00, v54
	v_mul_lo_u16 v16, 0xab, v22
	global_load_dwordx2 v[45:46], v[4:5], off offset:1840
	v_lshrrev_b16 v16, 10, v16
	s_waitcnt lgkmcnt(0)
	v_mad_u64_u32 v[0:1], null, s18, v44, 0
	v_mad_u64_u32 v[2:3], null, s16, v53, 0
	s_mul_i32 s0, s17, 0x798
	s_mul_hi_u32 s1, s16, 0x798
	s_mul_i32 s6, s16, 0x798
	s_add_i32 s1, s1, s0
	v_mad_u64_u32 v[6:7], null, s19, v44, v[1:2]
	v_mad_u64_u32 v[9:10], null, s17, v53, v[3:4]
	v_add_co_u32 v7, vcc_lo, 0x1000, v57
	v_add_co_ci_u32_e32 v8, vcc_lo, 0, v58, vcc_lo
	v_mov_b32_e32 v1, v6
	v_add_co_u32 v10, vcc_lo, 0x1800, v57
	global_load_dwordx2 v[47:48], v[7:8], off offset:1736
	v_mov_b32_e32 v3, v9
	v_lshlrev_b64 v[0:1], 3, v[0:1]
	v_add_co_ci_u32_e32 v11, vcc_lo, 0, v58, vcc_lo
	v_add_co_u32 v12, vcc_lo, 0x2000, v57
	v_add_co_ci_u32_e32 v13, vcc_lo, 0, v58, vcc_lo
	v_lshlrev_b64 v[2:3], 3, v[2:3]
	v_add_co_u32 v0, vcc_lo, s14, v0
	v_add_co_ci_u32_e32 v1, vcc_lo, s15, v1, vcc_lo
	v_add_co_u32 v0, vcc_lo, v0, v2
	v_add_co_ci_u32_e32 v1, vcc_lo, v1, v3, vcc_lo
	;; [unrolled: 2-line block ×3, first 2 shown]
	global_load_dwordx2 v[0:1], v[0:1], off
	v_add_co_u32 v4, vcc_lo, v2, s6
	v_add_co_ci_u32_e32 v5, vcc_lo, s1, v3, vcc_lo
	v_add_co_u32 v6, vcc_lo, v4, s6
	v_add_co_ci_u32_e32 v7, vcc_lo, s1, v5, vcc_lo
	s_clause 0x1
	global_load_dwordx2 v[2:3], v[2:3], off
	global_load_dwordx2 v[4:5], v[4:5], off
	v_add_co_u32 v8, vcc_lo, v6, s6
	v_add_co_ci_u32_e32 v9, vcc_lo, s1, v7, vcc_lo
	global_load_dwordx2 v[6:7], v[6:7], off
	v_add_co_u32 v14, vcc_lo, v8, s6
	v_add_co_ci_u32_e32 v15, vcc_lo, s1, v9, vcc_lo
	global_load_dwordx2 v[49:50], v[10:11], off offset:1632
	global_load_dwordx2 v[8:9], v[8:9], off
	global_load_dwordx2 v[51:52], v[12:13], off offset:1528
	global_load_dwordx2 v[10:11], v[14:15], off
	v_mov_b32_e32 v13, 0xaaab
	s_load_dwordx4 s[0:3], s[2:3], 0x0
	v_cmp_gt_u16_e32 vcc_lo, 0xa2, v32
	v_mul_u32_u24_sdwa v17, v33, v13 dst_sel:DWORD dst_unused:UNUSED_PAD src0_sel:WORD_0 src1_sel:DWORD
	v_lshrrev_b32_e32 v17, 18, v17
	s_waitcnt vmcnt(7)
	v_mul_f32_e32 v12, v1, v43
	v_mul_f32_e32 v14, v0, v43
	v_fmac_f32_e32 v12, v0, v42
	v_fma_f32 v13, v1, v42, -v14
	s_waitcnt vmcnt(6)
	v_mul_f32_e32 v0, v3, v41
	v_mul_f32_e32 v1, v2, v41
	s_waitcnt vmcnt(5)
	v_mul_f32_e32 v14, v5, v46
	v_mul_f32_e32 v15, v4, v46
	v_fmac_f32_e32 v0, v2, v40
	s_waitcnt vmcnt(4)
	v_mul_f32_e32 v2, v7, v48
	v_fma_f32 v1, v3, v40, -v1
	v_mul_f32_e32 v3, v6, v48
	v_fmac_f32_e32 v14, v4, v45
	v_fma_f32 v15, v5, v45, -v15
	v_fmac_f32_e32 v2, v6, v47
	s_waitcnt vmcnt(2)
	v_mul_f32_e32 v4, v9, v50
	v_mul_f32_e32 v5, v8, v50
	s_waitcnt vmcnt(0)
	v_mul_f32_e32 v6, v11, v52
	v_mul_f32_e32 v18, v10, v52
	v_fma_f32 v3, v7, v47, -v3
	v_fmac_f32_e32 v4, v8, v49
	v_fma_f32 v5, v9, v49, -v5
	v_fmac_f32_e32 v6, v10, v51
	v_fma_f32 v7, v11, v51, -v18
	ds_write2_b64 v54, v[12:13], v[0:1] offset1:243
	ds_write2_b64 v56, v[14:15], v[2:3] offset0:6 offset1:249
	ds_write2_b64 v55, v[4:5], v[6:7] offset0:12 offset1:255
	s_waitcnt lgkmcnt(0)
	s_barrier
	buffer_gl0_inv
	ds_read2_b64 v[0:3], v54 offset1:243
	ds_read2_b64 v[4:7], v56 offset0:6 offset1:249
	ds_read2_b64 v[8:11], v55 offset0:12 offset1:255
	v_mul_lo_u16 v12, v16, 6
	v_mul_lo_u16 v13, v17, 6
	s_waitcnt lgkmcnt(0)
	s_barrier
	buffer_gl0_inv
	v_sub_nc_u16 v12, v32, v12
	v_sub_nc_u16 v18, v33, v13
	v_mul_lo_u16 v13, v32, 6
	v_and_b32_e32 v19, 0xff, v12
	v_lshlrev_b16 v12, 1, v18
	v_lshlrev_b32_sdwa v59, v34, v13 dst_sel:DWORD dst_unused:UNUSED_PAD src0_sel:DWORD src1_sel:WORD_0
	v_mad_u16 v17, v17, 18, v18
	v_lshlrev_b32_e32 v13, 4, v19
	v_lshlrev_b32_sdwa v12, v34, v12 dst_sel:DWORD dst_unused:UNUSED_PAD src0_sel:DWORD src1_sel:WORD_0
	v_add_f32_e32 v14, v0, v4
	v_add_f32_e32 v15, v4, v8
	v_sub_f32_e32 v20, v5, v9
	v_add_f32_e32 v21, v1, v5
	v_add_f32_e32 v5, v5, v9
	;; [unrolled: 1-line block ×3, first 2 shown]
	v_sub_f32_e32 v25, v7, v11
	v_add_f32_e32 v26, v3, v7
	v_add_f32_e32 v7, v7, v11
	v_sub_f32_e32 v4, v4, v8
	v_add_f32_e32 v23, v2, v6
	v_sub_f32_e32 v6, v6, v10
	v_add_f32_e32 v8, v14, v8
	v_fma_f32 v14, -0.5, v15, v0
	v_fma_f32 v15, -0.5, v5, v1
	;; [unrolled: 1-line block ×3, first 2 shown]
	v_fmac_f32_e32 v3, -0.5, v7
	v_add_f32_e32 v5, v23, v10
	v_add_f32_e32 v10, v26, v11
	v_fmamk_f32 v11, v20, 0x3f5db3d7, v14
	v_fmac_f32_e32 v14, 0xbf5db3d7, v20
	v_fmamk_f32 v20, v4, 0xbf5db3d7, v15
	v_fmac_f32_e32 v15, 0x3f5db3d7, v4
	v_fmamk_f32 v4, v25, 0x3f5db3d7, v2
	v_fmamk_f32 v7, v6, 0xbf5db3d7, v3
	v_fmac_f32_e32 v2, 0xbf5db3d7, v25
	v_fmac_f32_e32 v3, 0x3f5db3d7, v6
	v_add_f32_e32 v9, v21, v9
	v_mul_f32_e32 v24, 0xbf5db3d7, v4
	v_mul_f32_e32 v21, 0x3f5db3d7, v7
	v_mul_f32_e32 v23, -0.5, v2
	v_mul_f32_e32 v25, -0.5, v3
	v_add_f32_e32 v0, v8, v5
	v_fmac_f32_e32 v24, 0.5, v7
	v_fmac_f32_e32 v21, 0.5, v4
	v_fmac_f32_e32 v23, 0x3f5db3d7, v3
	v_fmac_f32_e32 v25, 0xbf5db3d7, v2
	v_add_f32_e32 v1, v9, v10
	v_add_f32_e32 v3, v20, v24
	;; [unrolled: 1-line block ×3, first 2 shown]
	v_sub_f32_e32 v6, v8, v5
	v_sub_f32_e32 v7, v9, v10
	v_add_f32_e32 v4, v14, v23
	v_add_f32_e32 v5, v15, v25
	v_sub_f32_e32 v8, v11, v21
	v_sub_f32_e32 v10, v14, v23
	;; [unrolled: 1-line block ×4, first 2 shown]
	ds_write_b128 v59, v[0:3]
	ds_write_b128 v59, v[4:7] offset:16
	ds_write_b128 v59, v[8:11] offset:32
	s_waitcnt lgkmcnt(0)
	s_barrier
	buffer_gl0_inv
	s_clause 0x1
	global_load_dwordx4 v[4:7], v13, s[10:11]
	global_load_dwordx4 v[0:3], v12, s[10:11]
	v_mov_b32_e32 v8, 0xe38f
	v_mul_lo_u16 v9, v22, 57
	v_mov_b32_e32 v20, 18
	v_lshlrev_b32_sdwa v60, v34, v17 dst_sel:DWORD dst_unused:UNUSED_PAD src0_sel:DWORD src1_sel:WORD_0
	v_mul_u32_u24_sdwa v8, v33, v8 dst_sel:DWORD dst_unused:UNUSED_PAD src0_sel:WORD_0 src1_sel:DWORD
	v_lshrrev_b16 v23, 10, v9
	v_mul_u32_u24_sdwa v16, v16, v20 dst_sel:DWORD dst_unused:UNUSED_PAD src0_sel:WORD_0 src1_sel:DWORD
	v_lshrrev_b32_e32 v24, 20, v8
	v_mul_lo_u16 v12, v23, 18
	v_add_lshl_u32 v61, v16, v19, 3
	ds_read2_b64 v[16:19], v54 offset1:243
	v_mul_lo_u16 v8, v24, 18
	v_sub_nc_u16 v21, v32, v12
	ds_read2_b64 v[12:15], v55 offset0:12 offset1:255
	v_sub_nc_u16 v25, v33, v8
	ds_read2_b64 v[8:11], v56 offset0:6 offset1:249
	v_and_b32_e32 v26, 0xff, v21
	s_waitcnt vmcnt(0) lgkmcnt(0)
	s_barrier
	v_lshlrev_b16 v20, 4, v25
	buffer_gl0_inv
	v_lshlrev_b32_e32 v27, 4, v26
	v_mad_u16 v24, v24, 54, v25
	v_and_b32_e32 v20, 0xffff, v20
	v_add_co_u32 v20, s6, s10, v20
	v_add_co_ci_u32_e64 v21, null, s11, 0, s6
	v_mul_f32_e32 v28, v9, v5
	v_mul_f32_e32 v29, v8, v5
	;; [unrolled: 1-line block ×8, first 2 shown]
	v_fma_f32 v8, v8, v4, -v28
	v_fmac_f32_e32 v29, v9, v4
	v_fma_f32 v9, v10, v0, -v31
	v_fma_f32 v10, v12, v6, -v30
	v_fmac_f32_e32 v36, v13, v6
	v_fmac_f32_e32 v35, v11, v0
	v_fma_f32 v12, v14, v2, -v37
	v_fmac_f32_e32 v38, v15, v2
	v_add_f32_e32 v11, v16, v8
	v_add_f32_e32 v13, v8, v10
	;; [unrolled: 1-line block ×4, first 2 shown]
	v_sub_f32_e32 v37, v35, v38
	v_add_f32_e32 v39, v19, v35
	v_add_f32_e32 v35, v35, v38
	v_sub_f32_e32 v15, v29, v36
	v_add_f32_e32 v14, v17, v29
	v_sub_f32_e32 v29, v8, v10
	v_add_f32_e32 v8, v11, v10
	v_fma_f32 v10, -0.5, v13, v16
	v_fma_f32 v11, -0.5, v28, v17
	v_add_f32_e32 v30, v18, v9
	v_sub_f32_e32 v62, v9, v12
	v_fma_f32 v18, -0.5, v31, v18
	v_fmac_f32_e32 v19, -0.5, v35
	v_add_f32_e32 v9, v14, v36
	v_fmamk_f32 v14, v15, 0x3f5db3d7, v10
	v_fmac_f32_e32 v10, 0xbf5db3d7, v15
	v_fmamk_f32 v15, v29, 0xbf5db3d7, v11
	v_fmac_f32_e32 v11, 0x3f5db3d7, v29
	v_add_f32_e32 v12, v30, v12
	v_add_f32_e32 v13, v39, v38
	v_fmamk_f32 v16, v37, 0x3f5db3d7, v18
	v_fmamk_f32 v17, v62, 0xbf5db3d7, v19
	v_fmac_f32_e32 v18, 0xbf5db3d7, v37
	v_fmac_f32_e32 v19, 0x3f5db3d7, v62
	ds_write2_b64 v61, v[8:9], v[14:15] offset1:6
	ds_write_b64 v61, v[10:11] offset:96
	ds_write2_b64 v60, v[12:13], v[16:17] offset1:6
	ds_write_b64 v60, v[18:19] offset:96
	s_waitcnt lgkmcnt(0)
	s_barrier
	buffer_gl0_inv
	s_clause 0x1
	global_load_dwordx4 v[12:15], v27, s[10:11] offset:96
	global_load_dwordx4 v[8:11], v[20:21], off offset:96
	v_mov_b32_e32 v16, 0x97b5
	v_lshrrev_b16 v17, 1, v33
	v_mov_b32_e32 v21, 54
	v_lshlrev_b32_sdwa v62, v34, v24 dst_sel:DWORD dst_unused:UNUSED_PAD src0_sel:DWORD src1_sel:WORD_0
	v_mul_u32_u24_sdwa v16, v17, v16 dst_sel:DWORD dst_unused:UNUSED_PAD src0_sel:WORD_0 src1_sel:DWORD
	v_mul_lo_u16 v17, v22, 19
	v_mul_u32_u24_sdwa v28, v23, v21 dst_sel:DWORD dst_unused:UNUSED_PAD src0_sel:WORD_0 src1_sel:DWORD
	v_lshrrev_b32_e32 v37, 20, v16
	v_lshrrev_b16 v30, 10, v17
	v_add_lshl_u32 v63, v28, v26, 3
	v_mul_lo_u16 v16, v37, 54
	v_mul_lo_u16 v20, v30, 54
	v_sub_nc_u16 v38, v33, v16
	ds_read2_b64 v[16:19], v56 offset0:6 offset1:249
	v_sub_nc_u16 v27, v32, v20
	ds_read2_b64 v[20:23], v55 offset0:12 offset1:255
	v_lshlrev_b16 v29, 4, v38
	v_mad_u16 v37, 0xa2, v37, v38
	v_and_b32_e32 v39, 0xff, v27
	ds_read2_b64 v[24:27], v54 offset1:243
	s_waitcnt vmcnt(0) lgkmcnt(0)
	v_and_b32_e32 v28, 0xffff, v29
	s_barrier
	v_lshlrev_b32_e32 v31, 4, v39
	buffer_gl0_inv
	v_add_co_u32 v28, s6, s10, v28
	v_add_co_ci_u32_e64 v29, null, s11, 0, s6
	v_mul_f32_e32 v35, v17, v13
	v_mul_f32_e32 v36, v16, v13
	;; [unrolled: 1-line block ×8, first 2 shown]
	v_fma_f32 v16, v16, v12, -v35
	v_fmac_f32_e32 v36, v17, v12
	v_fma_f32 v17, v18, v8, -v64
	v_fmac_f32_e32 v67, v21, v14
	;; [unrolled: 2-line block ×4, first 2 shown]
	v_add_f32_e32 v19, v25, v36
	v_add_f32_e32 v21, v36, v67
	;; [unrolled: 1-line block ×5, first 2 shown]
	v_sub_f32_e32 v66, v65, v69
	v_add_f32_e32 v70, v17, v20
	v_add_f32_e32 v65, v65, v69
	v_sub_f32_e32 v35, v36, v67
	v_sub_f32_e32 v36, v16, v18
	v_add_f32_e32 v68, v26, v17
	v_sub_f32_e32 v71, v17, v20
	v_add_f32_e32 v17, v19, v67
	v_add_f32_e32 v16, v22, v18
	v_fma_f32 v18, -0.5, v23, v24
	v_fma_f32 v19, -0.5, v21, v25
	v_fma_f32 v26, -0.5, v70, v26
	v_fmac_f32_e32 v27, -0.5, v65
	v_add_f32_e32 v21, v64, v69
	v_fmamk_f32 v22, v35, 0x3f5db3d7, v18
	v_fmamk_f32 v23, v36, 0xbf5db3d7, v19
	v_fmac_f32_e32 v18, 0xbf5db3d7, v35
	v_fmac_f32_e32 v19, 0x3f5db3d7, v36
	v_add_f32_e32 v20, v68, v20
	v_fmamk_f32 v24, v66, 0x3f5db3d7, v26
	v_fmamk_f32 v25, v71, 0xbf5db3d7, v27
	v_fmac_f32_e32 v26, 0xbf5db3d7, v66
	v_fmac_f32_e32 v27, 0x3f5db3d7, v71
	ds_write2_b64 v63, v[16:17], v[22:23] offset1:18
	ds_write_b64 v63, v[18:19] offset:288
	ds_write2_b64 v62, v[20:21], v[24:25] offset1:18
	ds_write_b64 v62, v[26:27] offset:288
	s_waitcnt lgkmcnt(0)
	s_barrier
	buffer_gl0_inv
	s_clause 0x1
	global_load_dwordx4 v[20:23], v31, s[10:11] offset:384
	global_load_dwordx4 v[16:19], v[28:29], off offset:384
	v_mov_b32_e32 v24, 0x6523
	v_mov_b32_e32 v28, 0xa2
	v_mul_u32_u24_sdwa v24, v33, v24 dst_sel:DWORD dst_unused:UNUSED_PAD src0_sel:WORD_0 src1_sel:DWORD
	v_mul_u32_u24_sdwa v64, v30, v28 dst_sel:DWORD dst_unused:UNUSED_PAD src0_sel:WORD_0 src1_sel:DWORD
	ds_read2_b64 v[28:31], v55 offset0:12 offset1:255
	v_lshrrev_b32_e32 v72, 22, v24
	v_add_co_u32 v24, s6, 0xffffff5e, v53
	v_add_co_ci_u32_e64 v25, null, 0, -1, s6
	v_mul_lo_u16 v26, 0xa2, v72
	v_cndmask_b32_e32 v66, v24, v53, vcc_lo
	v_cndmask_b32_e64 v67, v25, 0, vcc_lo
	v_sub_nc_u16 v73, v33, v26
	ds_read2_b64 v[24:27], v56 offset0:6 offset1:249
	v_lshlrev_b64 v[35:36], 4, v[66:67]
	v_lshlrev_b16 v65, 4, v73
	v_add_co_u32 v67, vcc_lo, s10, v35
	v_add_co_ci_u32_e32 v68, vcc_lo, s11, v36, vcc_lo
	v_and_b32_e32 v69, 0xffff, v65
	v_add_lshl_u32 v65, v64, v39, 3
	v_lshlrev_b32_sdwa v64, v34, v37 dst_sel:DWORD dst_unused:UNUSED_PAD src0_sel:DWORD src1_sel:WORD_0
	ds_read2_b64 v[35:38], v54 offset1:243
	s_waitcnt vmcnt(0) lgkmcnt(0)
	v_add_co_u32 v69, s6, s10, v69
	v_add_co_ci_u32_e64 v70, null, s11, 0, s6
	s_barrier
	buffer_gl0_inv
	v_cmp_lt_u16_e32 vcc_lo, 0xa1, v32
	v_cndmask_b32_e64 v32, 0, 0x1e6, vcc_lo
	v_add_lshl_u32 v66, v66, v32, 3
	v_mul_f32_e32 v39, v25, v21
	v_mul_f32_e32 v71, v24, v21
	;; [unrolled: 1-line block ×8, first 2 shown]
	v_fma_f32 v24, v24, v20, -v39
	v_fmac_f32_e32 v71, v25, v20
	v_fma_f32 v25, v26, v16, -v74
	v_fmac_f32_e32 v77, v29, v22
	;; [unrolled: 2-line block ×4, first 2 shown]
	v_add_f32_e32 v27, v36, v71
	v_add_f32_e32 v29, v71, v77
	;; [unrolled: 1-line block ×5, first 2 shown]
	v_sub_f32_e32 v76, v75, v79
	v_add_f32_e32 v75, v75, v79
	v_add_f32_e32 v80, v25, v28
	v_sub_f32_e32 v39, v71, v77
	v_sub_f32_e32 v71, v24, v26
	v_add_f32_e32 v78, v37, v25
	v_sub_f32_e32 v81, v25, v28
	v_add_f32_e32 v25, v27, v77
	v_add_f32_e32 v24, v30, v26
	v_fma_f32 v26, -0.5, v31, v35
	v_fma_f32 v27, -0.5, v29, v36
	;; [unrolled: 1-line block ×3, first 2 shown]
	v_fmac_f32_e32 v38, -0.5, v75
	v_add_f32_e32 v29, v74, v79
	v_fmamk_f32 v30, v39, 0x3f5db3d7, v26
	v_fmamk_f32 v31, v71, 0xbf5db3d7, v27
	v_fmac_f32_e32 v26, 0xbf5db3d7, v39
	v_fmac_f32_e32 v27, 0x3f5db3d7, v71
	v_add_f32_e32 v28, v78, v28
	v_fmamk_f32 v35, v76, 0x3f5db3d7, v37
	v_fmamk_f32 v36, v81, 0xbf5db3d7, v38
	v_fmac_f32_e32 v37, 0xbf5db3d7, v76
	v_fmac_f32_e32 v38, 0x3f5db3d7, v81
	ds_write2_b64 v65, v[24:25], v[30:31] offset1:54
	ds_write_b64 v65, v[26:27] offset:864
	ds_write2_b64 v64, v[28:29], v[35:36] offset1:54
	ds_write_b64 v64, v[37:38] offset:864
	s_waitcnt lgkmcnt(0)
	s_barrier
	buffer_gl0_inv
	s_clause 0x1
	global_load_dwordx4 v[24:27], v[67:68], off offset:1248
	global_load_dwordx4 v[28:31], v[69:70], off offset:1248
	v_lshlrev_b32_e32 v35, 4, v53
	ds_read2_b64 v[68:71], v55 offset0:12 offset1:255
	v_lshlrev_b32_e32 v74, 4, v33
	v_mad_u16 v78, 0x1e6, v72, v73
	v_add_co_u32 v39, s6, s10, v35
	ds_read2_b64 v[35:38], v56 offset0:6 offset1:249
	v_add_co_ci_u32_e64 v67, null, s11, 0, s6
	v_add_co_u32 v32, vcc_lo, 0x800, v39
	v_add_co_u32 v39, s6, s10, v74
	ds_read2_b64 v[72:75], v54 offset1:243
	v_add_co_ci_u32_e32 v33, vcc_lo, 0, v67, vcc_lo
	v_add_co_ci_u32_e64 v67, null, s11, 0, s6
	v_add_co_u32 v76, vcc_lo, 0x800, v39
	s_waitcnt vmcnt(0) lgkmcnt(0)
	v_add_co_ci_u32_e32 v77, vcc_lo, 0, v67, vcc_lo
	v_lshlrev_b32_sdwa v67, v34, v78 dst_sel:DWORD dst_unused:UNUSED_PAD src0_sel:DWORD src1_sel:WORD_0
	s_barrier
	buffer_gl0_inv
	s_mul_hi_u32 s6, s0, 0x798
	v_mul_f32_e32 v34, v36, v25
	v_mul_f32_e32 v39, v35, v25
	;; [unrolled: 1-line block ×8, first 2 shown]
	v_fma_f32 v34, v35, v24, -v34
	v_fmac_f32_e32 v39, v36, v24
	v_fmac_f32_e32 v81, v69, v26
	v_fma_f32 v36, v68, v26, -v80
	v_fma_f32 v35, v37, v28, -v78
	v_fmac_f32_e32 v79, v38, v28
	v_fma_f32 v38, v70, v30, -v82
	v_fmac_f32_e32 v83, v71, v30
	v_add_f32_e32 v37, v73, v39
	v_sub_f32_e32 v70, v39, v81
	v_add_f32_e32 v39, v39, v81
	v_add_f32_e32 v68, v72, v34
	;; [unrolled: 1-line block ×4, first 2 shown]
	v_sub_f32_e32 v80, v79, v83
	v_add_f32_e32 v79, v79, v83
	v_add_f32_e32 v84, v35, v38
	v_sub_f32_e32 v71, v34, v36
	v_add_f32_e32 v82, v74, v35
	v_sub_f32_e32 v85, v35, v38
	v_add_f32_e32 v35, v37, v81
	v_add_f32_e32 v34, v68, v36
	v_fma_f32 v36, -0.5, v69, v72
	v_fma_f32 v37, -0.5, v39, v73
	;; [unrolled: 1-line block ×3, first 2 shown]
	v_fmac_f32_e32 v75, -0.5, v79
	v_add_f32_e32 v39, v78, v83
	v_fmamk_f32 v68, v70, 0x3f5db3d7, v36
	v_fmamk_f32 v69, v71, 0xbf5db3d7, v37
	v_fmac_f32_e32 v36, 0xbf5db3d7, v70
	v_fmac_f32_e32 v37, 0x3f5db3d7, v71
	v_add_f32_e32 v38, v82, v38
	v_fmamk_f32 v70, v80, 0x3f5db3d7, v74
	v_fmamk_f32 v71, v85, 0xbf5db3d7, v75
	v_fmac_f32_e32 v74, 0xbf5db3d7, v80
	v_fmac_f32_e32 v75, 0x3f5db3d7, v85
	ds_write2_b64 v66, v[34:35], v[68:69] offset1:162
	ds_write_b64 v66, v[36:37] offset:2592
	ds_write2_b64 v67, v[38:39], v[70:71] offset1:162
	ds_write_b64 v67, v[74:75] offset:2592
	s_waitcnt lgkmcnt(0)
	s_barrier
	buffer_gl0_inv
	s_clause 0x1
	global_load_dwordx4 v[32:35], v[32:33], off offset:1792
	global_load_dwordx4 v[36:39], v[76:77], off offset:1792
	ds_read2_b64 v[68:71], v56 offset0:6 offset1:249
	ds_read2_b64 v[72:75], v55 offset0:12 offset1:255
	ds_read2_b64 v[76:79], v54 offset1:243
	v_add_co_u32 v80, vcc_lo, 0x2800, v57
	v_add_co_ci_u32_e32 v81, vcc_lo, 0, v58, vcc_lo
	s_waitcnt vmcnt(1) lgkmcnt(2)
	v_mul_f32_e32 v82, v69, v33
	v_mul_f32_e32 v83, v68, v33
	s_waitcnt vmcnt(0)
	v_mul_f32_e32 v84, v71, v37
	v_mul_f32_e32 v85, v70, v37
	s_waitcnt lgkmcnt(1)
	v_mul_f32_e32 v86, v73, v35
	v_mul_f32_e32 v87, v72, v35
	;; [unrolled: 1-line block ×4, first 2 shown]
	v_fma_f32 v82, v68, v32, -v82
	v_fmac_f32_e32 v83, v69, v32
	v_fma_f32 v84, v70, v36, -v84
	v_fmac_f32_e32 v85, v71, v36
	v_fmac_f32_e32 v87, v73, v34
	v_fma_f32 v70, v72, v34, -v86
	v_fmac_f32_e32 v89, v75, v38
	v_fma_f32 v86, v74, v38, -v88
	s_waitcnt lgkmcnt(0)
	v_add_f32_e32 v71, v77, v83
	v_sub_f32_e32 v88, v83, v87
	v_add_f32_e32 v73, v83, v87
	v_add_f32_e32 v72, v76, v82
	;; [unrolled: 1-line block ×5, first 2 shown]
	v_sub_f32_e32 v90, v82, v70
	v_add_f32_e32 v82, v79, v85
	v_sub_f32_e32 v91, v85, v89
	v_add_f32_e32 v85, v84, v86
	v_add_co_u32 v68, vcc_lo, 0x2d90, v57
	v_add_f32_e32 v70, v72, v70
	v_fma_f32 v72, -0.5, v74, v76
	v_fma_f32 v73, -0.5, v73, v77
	v_add_f32_e32 v74, v75, v86
	v_sub_f32_e32 v86, v84, v86
	v_fmac_f32_e32 v79, -0.5, v83
	v_add_co_ci_u32_e32 v69, vcc_lo, 0, v58, vcc_lo
	v_add_co_u32 v76, vcc_lo, 0x3800, v57
	v_fma_f32 v78, -0.5, v85, v78
	v_add_co_ci_u32_e32 v77, vcc_lo, 0, v58, vcc_lo
	v_add_f32_e32 v75, v82, v89
	v_fmamk_f32 v82, v88, 0x3f5db3d7, v72
	v_fmamk_f32 v83, v90, 0xbf5db3d7, v73
	;; [unrolled: 1-line block ×3, first 2 shown]
	v_fmac_f32_e32 v79, 0x3f5db3d7, v86
	v_add_co_u32 v86, vcc_lo, 0x4000, v57
	v_fmac_f32_e32 v72, 0xbf5db3d7, v88
	v_fmac_f32_e32 v73, 0x3f5db3d7, v90
	v_add_f32_e32 v71, v71, v87
	v_add_co_ci_u32_e32 v87, vcc_lo, 0, v58, vcc_lo
	v_fmamk_f32 v84, v91, 0x3f5db3d7, v78
	v_fmac_f32_e32 v78, 0xbf5db3d7, v91
	ds_write_b64 v54, v[82:83] offset:3888
	ds_write_b64 v54, v[72:73] offset:7776
	ds_write2_b64 v54, v[70:71], v[74:75] offset1:243
	ds_write_b64 v54, v[78:79] offset:9720
	ds_write_b64 v54, v[84:85] offset:5832
	s_waitcnt lgkmcnt(0)
	s_barrier
	buffer_gl0_inv
	s_clause 0x3
	global_load_dwordx2 v[72:73], v[80:81], off offset:1424
	global_load_dwordx2 v[76:77], v[76:77], off offset:1216
	;; [unrolled: 1-line block ×4, first 2 shown]
	v_add_co_u32 v68, vcc_lo, 0x4800, v57
	v_add_co_ci_u32_e32 v69, vcc_lo, 0, v58, vcc_lo
	v_add_co_u32 v57, vcc_lo, 0x5000, v57
	v_add_co_ci_u32_e32 v58, vcc_lo, 0, v58, vcc_lo
	s_clause 0x1
	global_load_dwordx2 v[80:81], v[68:69], off offset:1008
	global_load_dwordx2 v[57:58], v[57:58], off offset:904
	ds_read2_b64 v[68:71], v54 offset1:243
	s_waitcnt vmcnt(5) lgkmcnt(0)
	v_mul_f32_e32 v82, v69, v73
	v_mul_f32_e32 v83, v68, v73
	s_waitcnt vmcnt(2)
	v_mul_f32_e32 v84, v71, v75
	v_mul_f32_e32 v73, v70, v75
	v_fma_f32 v82, v68, v72, -v82
	v_fmac_f32_e32 v83, v69, v72
	v_fma_f32 v72, v70, v74, -v84
	v_fmac_f32_e32 v73, v71, v74
	ds_write2_b64 v54, v[82:83], v[72:73] offset1:243
	ds_read2_b64 v[68:71], v56 offset0:6 offset1:249
	ds_read2_b64 v[72:75], v55 offset0:12 offset1:255
	s_waitcnt lgkmcnt(1)
	v_mul_f32_e32 v83, v69, v77
	v_mul_f32_e32 v82, v68, v77
	;; [unrolled: 1-line block ×4, first 2 shown]
	s_waitcnt vmcnt(1) lgkmcnt(0)
	v_mul_f32_e32 v85, v73, v81
	v_mul_f32_e32 v79, v72, v81
	v_fma_f32 v81, v68, v76, -v83
	s_waitcnt vmcnt(0)
	v_mul_f32_e32 v68, v75, v58
	v_fmac_f32_e32 v82, v69, v76
	v_mul_f32_e32 v69, v74, v58
	v_fma_f32 v76, v70, v78, -v84
	v_fmac_f32_e32 v77, v71, v78
	v_fma_f32 v78, v72, v80, -v85
	v_fmac_f32_e32 v79, v73, v80
	;; [unrolled: 2-line block ×3, first 2 shown]
	ds_write2_b64 v56, v[81:82], v[76:77] offset0:6 offset1:249
	ds_write2_b64 v55, v[78:79], v[68:69] offset0:12 offset1:255
	s_waitcnt lgkmcnt(0)
	s_barrier
	buffer_gl0_inv
	ds_read2_b64 v[68:71], v54 offset1:243
	ds_read2_b64 v[72:75], v56 offset0:6 offset1:249
	ds_read2_b64 v[76:79], v55 offset0:12 offset1:255
	s_waitcnt lgkmcnt(0)
	s_barrier
	buffer_gl0_inv
	v_add_f32_e32 v85, v71, v75
	v_sub_f32_e32 v84, v75, v79
	v_add_f32_e32 v75, v75, v79
	v_add_f32_e32 v57, v68, v72
	v_sub_f32_e32 v80, v73, v77
	v_add_f32_e32 v81, v69, v73
	v_add_f32_e32 v73, v73, v77
	;; [unrolled: 1-line block ×4, first 2 shown]
	v_sub_f32_e32 v74, v74, v78
	v_fmac_f32_e32 v71, -0.5, v75
	v_add_f32_e32 v58, v72, v76
	v_sub_f32_e32 v72, v72, v76
	v_add_f32_e32 v57, v57, v76
	v_add_f32_e32 v76, v81, v77
	;; [unrolled: 1-line block ×3, first 2 shown]
	v_fma_f32 v70, -0.5, v83, v70
	v_add_f32_e32 v75, v85, v79
	v_fma_f32 v79, -0.5, v73, v69
	v_fmamk_f32 v73, v74, 0x3f5db3d7, v71
	v_fma_f32 v58, -0.5, v58, v68
	v_fmac_f32_e32 v71, 0xbf5db3d7, v74
	v_fmamk_f32 v78, v84, 0xbf5db3d7, v70
	v_add_f32_e32 v68, v57, v77
	v_sub_f32_e32 v74, v57, v77
	v_mul_f32_e32 v57, 0xbf5db3d7, v73
	v_mul_f32_e32 v77, 0.5, v73
	v_fmamk_f32 v81, v80, 0xbf5db3d7, v58
	v_fmac_f32_e32 v70, 0x3f5db3d7, v84
	v_fmac_f32_e32 v58, 0x3f5db3d7, v80
	v_mul_f32_e32 v80, 0xbf5db3d7, v71
	v_mul_f32_e32 v83, -0.5, v71
	v_fmamk_f32 v82, v72, 0x3f5db3d7, v79
	v_fmac_f32_e32 v57, 0.5, v78
	v_fmac_f32_e32 v77, 0x3f5db3d7, v78
	v_fmac_f32_e32 v79, 0xbf5db3d7, v72
	v_fmac_f32_e32 v80, -0.5, v70
	v_fmac_f32_e32 v83, 0x3f5db3d7, v70
	v_add_f32_e32 v69, v76, v75
	v_add_f32_e32 v70, v81, v57
	;; [unrolled: 1-line block ×3, first 2 shown]
	v_sub_f32_e32 v75, v76, v75
	v_add_f32_e32 v72, v58, v80
	v_add_f32_e32 v73, v79, v83
	v_sub_f32_e32 v76, v81, v57
	v_sub_f32_e32 v78, v58, v80
	v_sub_f32_e32 v77, v82, v77
	v_sub_f32_e32 v79, v79, v83
	ds_write_b128 v59, v[68:71]
	ds_write_b128 v59, v[72:75] offset:16
	ds_write_b128 v59, v[76:79] offset:32
	s_waitcnt lgkmcnt(0)
	s_barrier
	buffer_gl0_inv
	ds_read2_b64 v[68:71], v56 offset0:6 offset1:249
	ds_read2_b64 v[72:75], v55 offset0:12 offset1:255
	ds_read2_b64 v[76:79], v54 offset1:243
	s_waitcnt lgkmcnt(0)
	s_barrier
	buffer_gl0_inv
	v_mul_f32_e32 v57, v5, v69
	v_mul_f32_e32 v5, v5, v68
	;; [unrolled: 1-line block ×8, first 2 shown]
	v_fmac_f32_e32 v57, v4, v68
	v_fma_f32 v4, v4, v69, -v5
	v_fmac_f32_e32 v58, v6, v72
	v_fma_f32 v5, v6, v73, -v7
	;; [unrolled: 2-line block ×4, first 2 shown]
	v_add_f32_e32 v1, v77, v4
	v_sub_f32_e32 v68, v4, v5
	v_add_f32_e32 v3, v4, v5
	v_add_f32_e32 v2, v76, v57
	;; [unrolled: 1-line block ×5, first 2 shown]
	v_sub_f32_e32 v57, v57, v58
	v_add_f32_e32 v7, v79, v0
	v_sub_f32_e32 v69, v0, v6
	v_add_f32_e32 v0, v2, v58
	v_fma_f32 v2, -0.5, v4, v76
	v_fma_f32 v3, -0.5, v3, v77
	v_add_f32_e32 v71, v78, v59
	v_sub_f32_e32 v59, v59, v80
	v_fma_f32 v78, -0.5, v72, v78
	v_fmac_f32_e32 v79, -0.5, v70
	v_add_f32_e32 v1, v1, v5
	v_add_f32_e32 v5, v7, v6
	v_fmamk_f32 v6, v68, 0xbf5db3d7, v2
	v_fmamk_f32 v7, v57, 0x3f5db3d7, v3
	v_fmac_f32_e32 v2, 0x3f5db3d7, v68
	v_fmac_f32_e32 v3, 0xbf5db3d7, v57
	v_add_f32_e32 v4, v71, v80
	v_fmamk_f32 v57, v69, 0xbf5db3d7, v78
	v_fmamk_f32 v58, v59, 0x3f5db3d7, v79
	v_fmac_f32_e32 v78, 0x3f5db3d7, v69
	v_fmac_f32_e32 v79, 0xbf5db3d7, v59
	ds_write2_b64 v61, v[0:1], v[6:7] offset1:6
	ds_write_b64 v61, v[2:3] offset:96
	ds_write2_b64 v60, v[4:5], v[57:58] offset1:6
	ds_write_b64 v60, v[78:79] offset:96
	s_waitcnt lgkmcnt(0)
	s_barrier
	buffer_gl0_inv
	ds_read2_b64 v[0:3], v56 offset0:6 offset1:249
	ds_read2_b64 v[4:7], v55 offset0:12 offset1:255
	ds_read2_b64 v[57:60], v54 offset1:243
	s_waitcnt lgkmcnt(0)
	s_barrier
	buffer_gl0_inv
	v_mul_f32_e32 v61, v13, v1
	v_mul_f32_e32 v13, v13, v0
	;; [unrolled: 1-line block ×8, first 2 shown]
	v_fmac_f32_e32 v61, v12, v0
	v_fma_f32 v0, v12, v1, -v13
	v_fmac_f32_e32 v68, v14, v4
	v_fma_f32 v1, v14, v5, -v15
	;; [unrolled: 2-line block ×4, first 2 shown]
	v_add_f32_e32 v3, v58, v0
	v_add_f32_e32 v5, v0, v1
	;; [unrolled: 1-line block ×5, first 2 shown]
	v_sub_f32_e32 v8, v0, v1
	v_add_f32_e32 v0, v57, v61
	v_sub_f32_e32 v9, v61, v68
	v_add_f32_e32 v7, v60, v2
	;; [unrolled: 2-line block ×3, first 2 shown]
	v_fma_f32 v2, -0.5, v6, v57
	v_fma_f32 v3, -0.5, v5, v58
	v_add_f32_e32 v12, v59, v69
	v_sub_f32_e32 v14, v69, v70
	v_fma_f32 v59, -0.5, v13, v59
	v_fmac_f32_e32 v60, -0.5, v11
	v_add_f32_e32 v0, v0, v68
	v_add_f32_e32 v5, v7, v4
	v_fmamk_f32 v6, v8, 0xbf5db3d7, v2
	v_fmamk_f32 v7, v9, 0x3f5db3d7, v3
	v_fmac_f32_e32 v2, 0x3f5db3d7, v8
	v_fmac_f32_e32 v3, 0xbf5db3d7, v9
	v_add_f32_e32 v4, v12, v70
	v_fmamk_f32 v8, v10, 0xbf5db3d7, v59
	v_fmamk_f32 v9, v14, 0x3f5db3d7, v60
	v_fmac_f32_e32 v59, 0x3f5db3d7, v10
	v_fmac_f32_e32 v60, 0xbf5db3d7, v14
	ds_write2_b64 v63, v[0:1], v[6:7] offset1:18
	ds_write_b64 v63, v[2:3] offset:288
	ds_write2_b64 v62, v[4:5], v[8:9] offset1:18
	ds_write_b64 v62, v[59:60] offset:288
	s_waitcnt lgkmcnt(0)
	s_barrier
	buffer_gl0_inv
	ds_read2_b64 v[0:3], v56 offset0:6 offset1:249
	ds_read2_b64 v[4:7], v55 offset0:12 offset1:255
	ds_read2_b64 v[8:11], v54 offset1:243
	s_waitcnt lgkmcnt(0)
	s_barrier
	buffer_gl0_inv
	v_mul_f32_e32 v12, v21, v1
	v_mul_f32_e32 v13, v21, v0
	;; [unrolled: 1-line block ×8, first 2 shown]
	v_fmac_f32_e32 v12, v20, v0
	v_fma_f32 v0, v20, v1, -v13
	v_fmac_f32_e32 v14, v22, v4
	v_fma_f32 v1, v22, v5, -v15
	;; [unrolled: 2-line block ×4, first 2 shown]
	v_add_f32_e32 v3, v8, v12
	v_add_f32_e32 v4, v12, v14
	;; [unrolled: 1-line block ×5, first 2 shown]
	v_sub_f32_e32 v7, v0, v1
	v_add_f32_e32 v6, v9, v0
	v_sub_f32_e32 v12, v12, v14
	v_sub_f32_e32 v17, v2, v5
	v_add_f32_e32 v18, v11, v2
	v_add_f32_e32 v0, v3, v14
	v_fma_f32 v2, -0.5, v4, v8
	v_fma_f32 v3, -0.5, v13, v9
	v_add_f32_e32 v15, v10, v21
	v_sub_f32_e32 v20, v21, v23
	v_fma_f32 v10, -0.5, v16, v10
	v_fmac_f32_e32 v11, -0.5, v19
	v_add_f32_e32 v1, v6, v1
	v_fmamk_f32 v6, v7, 0xbf5db3d7, v2
	v_fmac_f32_e32 v2, 0x3f5db3d7, v7
	v_fmamk_f32 v7, v12, 0x3f5db3d7, v3
	v_fmac_f32_e32 v3, 0xbf5db3d7, v12
	v_add_f32_e32 v4, v15, v23
	v_add_f32_e32 v5, v18, v5
	v_fmamk_f32 v8, v17, 0xbf5db3d7, v10
	v_fmamk_f32 v9, v20, 0x3f5db3d7, v11
	v_fmac_f32_e32 v10, 0x3f5db3d7, v17
	v_fmac_f32_e32 v11, 0xbf5db3d7, v20
	ds_write2_b64 v65, v[0:1], v[6:7] offset1:54
	ds_write_b64 v65, v[2:3] offset:864
	ds_write2_b64 v64, v[4:5], v[8:9] offset1:54
	ds_write_b64 v64, v[10:11] offset:864
	s_waitcnt lgkmcnt(0)
	s_barrier
	buffer_gl0_inv
	ds_read2_b64 v[0:3], v56 offset0:6 offset1:249
	ds_read2_b64 v[4:7], v55 offset0:12 offset1:255
	ds_read2_b64 v[8:11], v54 offset1:243
	s_waitcnt lgkmcnt(0)
	s_barrier
	buffer_gl0_inv
	v_mul_f32_e32 v12, v25, v1
	v_mul_f32_e32 v13, v25, v0
	;; [unrolled: 1-line block ×8, first 2 shown]
	v_fmac_f32_e32 v12, v24, v0
	v_fma_f32 v0, v24, v1, -v13
	v_fmac_f32_e32 v14, v26, v4
	v_fma_f32 v1, v26, v5, -v15
	;; [unrolled: 2-line block ×4, first 2 shown]
	v_add_f32_e32 v3, v8, v12
	v_add_f32_e32 v4, v12, v14
	v_add_f32_e32 v13, v0, v1
	v_add_f32_e32 v17, v16, v18
	v_add_f32_e32 v21, v2, v5
	v_sub_f32_e32 v7, v0, v1
	v_add_f32_e32 v6, v9, v0
	v_sub_f32_e32 v12, v12, v14
	v_sub_f32_e32 v19, v2, v5
	v_add_f32_e32 v20, v11, v2
	v_add_f32_e32 v0, v3, v14
	v_fma_f32 v2, -0.5, v4, v8
	v_fma_f32 v3, -0.5, v13, v9
	v_add_f32_e32 v15, v10, v16
	v_sub_f32_e32 v16, v16, v18
	v_fma_f32 v10, -0.5, v17, v10
	v_fmac_f32_e32 v11, -0.5, v21
	v_add_f32_e32 v1, v6, v1
	v_fmamk_f32 v6, v7, 0xbf5db3d7, v2
	v_fmac_f32_e32 v2, 0x3f5db3d7, v7
	v_fmamk_f32 v7, v12, 0x3f5db3d7, v3
	v_fmac_f32_e32 v3, 0xbf5db3d7, v12
	v_add_f32_e32 v4, v15, v18
	v_add_f32_e32 v5, v20, v5
	v_fmamk_f32 v8, v19, 0xbf5db3d7, v10
	v_fmamk_f32 v9, v16, 0x3f5db3d7, v11
	v_fmac_f32_e32 v10, 0x3f5db3d7, v19
	v_fmac_f32_e32 v11, 0xbf5db3d7, v16
	ds_write2_b64 v66, v[0:1], v[6:7] offset1:162
	ds_write_b64 v66, v[2:3] offset:2592
	ds_write2_b64 v67, v[4:5], v[8:9] offset1:162
	ds_write_b64 v67, v[10:11] offset:2592
	s_waitcnt lgkmcnt(0)
	s_barrier
	buffer_gl0_inv
	ds_read2_b64 v[0:3], v56 offset0:6 offset1:249
	ds_read2_b64 v[4:7], v55 offset0:12 offset1:255
	ds_read2_b64 v[8:11], v54 offset1:243
	v_mad_u64_u32 v[12:13], null, s2, v44, 0
	v_mad_u64_u32 v[14:15], null, s0, v53, 0
	s_mulk_i32 s0, 0x798
	s_waitcnt lgkmcnt(2)
	v_mul_f32_e32 v16, v33, v1
	v_mul_f32_e32 v17, v33, v0
	s_waitcnt lgkmcnt(1)
	v_mul_f32_e32 v18, v35, v5
	v_mul_f32_e32 v19, v35, v4
	;; [unrolled: 1-line block ×6, first 2 shown]
	v_fmac_f32_e32 v16, v32, v0
	v_fma_f32 v0, v32, v1, -v17
	v_fmac_f32_e32 v18, v34, v4
	v_fma_f32 v1, v34, v5, -v19
	;; [unrolled: 2-line block ×4, first 2 shown]
	s_waitcnt lgkmcnt(0)
	v_add_f32_e32 v3, v8, v16
	v_add_f32_e32 v4, v16, v18
	;; [unrolled: 1-line block ×5, first 2 shown]
	v_sub_f32_e32 v7, v0, v1
	v_add_f32_e32 v6, v9, v0
	v_sub_f32_e32 v16, v16, v18
	v_sub_f32_e32 v23, v2, v5
	v_add_f32_e32 v24, v11, v2
	v_add_f32_e32 v0, v3, v18
	v_fma_f32 v2, -0.5, v4, v8
	v_fma_f32 v3, -0.5, v17, v9
	v_add_f32_e32 v19, v10, v20
	v_sub_f32_e32 v20, v20, v22
	v_fma_f32 v10, -0.5, v21, v10
	v_fmac_f32_e32 v11, -0.5, v25
	v_add_f32_e32 v1, v6, v1
	v_fmamk_f32 v6, v7, 0xbf5db3d7, v2
	v_fmac_f32_e32 v2, 0x3f5db3d7, v7
	v_fmamk_f32 v7, v16, 0x3f5db3d7, v3
	v_fmac_f32_e32 v3, 0xbf5db3d7, v16
	v_add_f32_e32 v4, v19, v22
	v_add_f32_e32 v5, v24, v5
	v_fmamk_f32 v8, v23, 0xbf5db3d7, v10
	v_fmamk_f32 v9, v20, 0x3f5db3d7, v11
	v_fmac_f32_e32 v10, 0x3f5db3d7, v23
	v_fmac_f32_e32 v11, 0xbf5db3d7, v20
	ds_write_b64 v54, v[6:7] offset:3888
	ds_write_b64 v54, v[2:3] offset:7776
	ds_write2_b64 v54, v[0:1], v[4:5] offset1:243
	ds_write_b64 v54, v[8:9] offset:5832
	ds_write_b64 v54, v[10:11] offset:9720
	s_waitcnt lgkmcnt(0)
	s_barrier
	buffer_gl0_inv
	ds_read2_b64 v[0:3], v54 offset1:243
	ds_read2_b64 v[4:7], v56 offset0:6 offset1:249
	ds_read2_b64 v[8:11], v55 offset0:12 offset1:255
	v_mad_u64_u32 v[16:17], null, s3, v44, v[13:14]
	s_load_dwordx2 s[2:3], s[4:5], 0x38
	s_mov_b32 s4, 0xe0bf08c7
	s_mov_b32 s5, 0x3f467980
	v_mad_u64_u32 v[17:18], null, s1, v53, v[15:16]
	v_mov_b32_e32 v13, v16
	s_mulk_i32 s1, 0x798
	s_add_i32 s6, s6, s1
	v_lshlrev_b64 v[12:13], 3, v[12:13]
	v_mov_b32_e32 v15, v17
	s_waitcnt lgkmcnt(0)
	v_mul_f32_e32 v16, v43, v1
	v_mul_f32_e32 v17, v43, v0
	;; [unrolled: 1-line block ×12, first 2 shown]
	v_fmac_f32_e32 v16, v42, v0
	v_fma_f32 v17, v42, v1, -v17
	v_fmac_f32_e32 v18, v40, v2
	v_fma_f32 v19, v40, v3, -v19
	;; [unrolled: 2-line block ×6, first 2 shown]
	v_cvt_f64_f32_e32 v[0:1], v16
	v_cvt_f64_f32_e32 v[2:3], v17
	;; [unrolled: 1-line block ×12, first 2 shown]
	v_add_co_u32 v28, vcc_lo, s2, v12
	v_add_co_ci_u32_e32 v29, vcc_lo, s3, v13, vcc_lo
	v_lshlrev_b64 v[14:15], 3, v[14:15]
	v_mul_f64 v[0:1], v[0:1], s[4:5]
	v_mul_f64 v[2:3], v[2:3], s[4:5]
	;; [unrolled: 1-line block ×12, first 2 shown]
	v_add_co_u32 v14, vcc_lo, v28, v14
	v_add_co_ci_u32_e32 v15, vcc_lo, v29, v15, vcc_lo
	v_add_co_u32 v26, vcc_lo, v14, s0
	v_add_co_ci_u32_e32 v27, vcc_lo, s6, v15, vcc_lo
	v_cvt_f32_f64_e32 v0, v[0:1]
	v_cvt_f32_f64_e32 v1, v[2:3]
	;; [unrolled: 1-line block ×12, first 2 shown]
	v_add_co_u32 v12, vcc_lo, v26, s0
	v_add_co_ci_u32_e32 v13, vcc_lo, s6, v27, vcc_lo
	v_add_co_u32 v16, vcc_lo, v12, s0
	v_add_co_ci_u32_e32 v17, vcc_lo, s6, v13, vcc_lo
	;; [unrolled: 2-line block ×4, first 2 shown]
	global_store_dwordx2 v[14:15], v[0:1], off
	global_store_dwordx2 v[26:27], v[2:3], off
	;; [unrolled: 1-line block ×6, first 2 shown]
.LBB0_2:
	s_endpgm
	.section	.rodata,"a",@progbits
	.p2align	6, 0x0
	.amdhsa_kernel bluestein_single_fwd_len1458_dim1_sp_op_CI_CI
		.amdhsa_group_segment_fixed_size 11664
		.amdhsa_private_segment_fixed_size 0
		.amdhsa_kernarg_size 104
		.amdhsa_user_sgpr_count 6
		.amdhsa_user_sgpr_private_segment_buffer 1
		.amdhsa_user_sgpr_dispatch_ptr 0
		.amdhsa_user_sgpr_queue_ptr 0
		.amdhsa_user_sgpr_kernarg_segment_ptr 1
		.amdhsa_user_sgpr_dispatch_id 0
		.amdhsa_user_sgpr_flat_scratch_init 0
		.amdhsa_user_sgpr_private_segment_size 0
		.amdhsa_wavefront_size32 1
		.amdhsa_uses_dynamic_stack 0
		.amdhsa_system_sgpr_private_segment_wavefront_offset 0
		.amdhsa_system_sgpr_workgroup_id_x 1
		.amdhsa_system_sgpr_workgroup_id_y 0
		.amdhsa_system_sgpr_workgroup_id_z 0
		.amdhsa_system_sgpr_workgroup_info 0
		.amdhsa_system_vgpr_workitem_id 0
		.amdhsa_next_free_vgpr 92
		.amdhsa_next_free_sgpr 20
		.amdhsa_reserve_vcc 1
		.amdhsa_reserve_flat_scratch 0
		.amdhsa_float_round_mode_32 0
		.amdhsa_float_round_mode_16_64 0
		.amdhsa_float_denorm_mode_32 3
		.amdhsa_float_denorm_mode_16_64 3
		.amdhsa_dx10_clamp 1
		.amdhsa_ieee_mode 1
		.amdhsa_fp16_overflow 0
		.amdhsa_workgroup_processor_mode 1
		.amdhsa_memory_ordered 1
		.amdhsa_forward_progress 0
		.amdhsa_shared_vgpr_count 0
		.amdhsa_exception_fp_ieee_invalid_op 0
		.amdhsa_exception_fp_denorm_src 0
		.amdhsa_exception_fp_ieee_div_zero 0
		.amdhsa_exception_fp_ieee_overflow 0
		.amdhsa_exception_fp_ieee_underflow 0
		.amdhsa_exception_fp_ieee_inexact 0
		.amdhsa_exception_int_div_zero 0
	.end_amdhsa_kernel
	.text
.Lfunc_end0:
	.size	bluestein_single_fwd_len1458_dim1_sp_op_CI_CI, .Lfunc_end0-bluestein_single_fwd_len1458_dim1_sp_op_CI_CI
                                        ; -- End function
	.section	.AMDGPU.csdata,"",@progbits
; Kernel info:
; codeLenInByte = 6364
; NumSgprs: 22
; NumVgprs: 92
; ScratchSize: 0
; MemoryBound: 0
; FloatMode: 240
; IeeeMode: 1
; LDSByteSize: 11664 bytes/workgroup (compile time only)
; SGPRBlocks: 2
; VGPRBlocks: 11
; NumSGPRsForWavesPerEU: 22
; NumVGPRsForWavesPerEU: 92
; Occupancy: 10
; WaveLimiterHint : 1
; COMPUTE_PGM_RSRC2:SCRATCH_EN: 0
; COMPUTE_PGM_RSRC2:USER_SGPR: 6
; COMPUTE_PGM_RSRC2:TRAP_HANDLER: 0
; COMPUTE_PGM_RSRC2:TGID_X_EN: 1
; COMPUTE_PGM_RSRC2:TGID_Y_EN: 0
; COMPUTE_PGM_RSRC2:TGID_Z_EN: 0
; COMPUTE_PGM_RSRC2:TIDIG_COMP_CNT: 0
	.text
	.p2alignl 6, 3214868480
	.fill 48, 4, 3214868480
	.type	__hip_cuid_b9b819aee377dc59,@object ; @__hip_cuid_b9b819aee377dc59
	.section	.bss,"aw",@nobits
	.globl	__hip_cuid_b9b819aee377dc59
__hip_cuid_b9b819aee377dc59:
	.byte	0                               ; 0x0
	.size	__hip_cuid_b9b819aee377dc59, 1

	.ident	"AMD clang version 19.0.0git (https://github.com/RadeonOpenCompute/llvm-project roc-6.4.0 25133 c7fe45cf4b819c5991fe208aaa96edf142730f1d)"
	.section	".note.GNU-stack","",@progbits
	.addrsig
	.addrsig_sym __hip_cuid_b9b819aee377dc59
	.amdgpu_metadata
---
amdhsa.kernels:
  - .args:
      - .actual_access:  read_only
        .address_space:  global
        .offset:         0
        .size:           8
        .value_kind:     global_buffer
      - .actual_access:  read_only
        .address_space:  global
        .offset:         8
        .size:           8
        .value_kind:     global_buffer
      - .actual_access:  read_only
        .address_space:  global
        .offset:         16
        .size:           8
        .value_kind:     global_buffer
      - .actual_access:  read_only
        .address_space:  global
        .offset:         24
        .size:           8
        .value_kind:     global_buffer
      - .actual_access:  read_only
        .address_space:  global
        .offset:         32
        .size:           8
        .value_kind:     global_buffer
      - .offset:         40
        .size:           8
        .value_kind:     by_value
      - .address_space:  global
        .offset:         48
        .size:           8
        .value_kind:     global_buffer
      - .address_space:  global
        .offset:         56
        .size:           8
        .value_kind:     global_buffer
      - .address_space:  global
        .offset:         64
        .size:           8
        .value_kind:     global_buffer
      - .address_space:  global
        .offset:         72
        .size:           8
        .value_kind:     global_buffer
      - .offset:         80
        .size:           4
        .value_kind:     by_value
      - .address_space:  global
        .offset:         88
        .size:           8
        .value_kind:     global_buffer
      - .address_space:  global
        .offset:         96
        .size:           8
        .value_kind:     global_buffer
    .group_segment_fixed_size: 11664
    .kernarg_segment_align: 8
    .kernarg_segment_size: 104
    .language:       OpenCL C
    .language_version:
      - 2
      - 0
    .max_flat_workgroup_size: 243
    .name:           bluestein_single_fwd_len1458_dim1_sp_op_CI_CI
    .private_segment_fixed_size: 0
    .sgpr_count:     22
    .sgpr_spill_count: 0
    .symbol:         bluestein_single_fwd_len1458_dim1_sp_op_CI_CI.kd
    .uniform_work_group_size: 1
    .uses_dynamic_stack: false
    .vgpr_count:     92
    .vgpr_spill_count: 0
    .wavefront_size: 32
    .workgroup_processor_mode: 1
amdhsa.target:   amdgcn-amd-amdhsa--gfx1030
amdhsa.version:
  - 1
  - 2
...

	.end_amdgpu_metadata
